;; amdgpu-corpus repo=ROCm/rocFFT kind=compiled arch=gfx1201 opt=O3
	.text
	.amdgcn_target "amdgcn-amd-amdhsa--gfx1201"
	.amdhsa_code_object_version 6
	.protected	fft_rtc_back_len616_factors_11_7_8_wgs_88_tpt_88_dp_op_CI_CI_unitstride_sbrr_dirReg ; -- Begin function fft_rtc_back_len616_factors_11_7_8_wgs_88_tpt_88_dp_op_CI_CI_unitstride_sbrr_dirReg
	.globl	fft_rtc_back_len616_factors_11_7_8_wgs_88_tpt_88_dp_op_CI_CI_unitstride_sbrr_dirReg
	.p2align	8
	.type	fft_rtc_back_len616_factors_11_7_8_wgs_88_tpt_88_dp_op_CI_CI_unitstride_sbrr_dirReg,@function
fft_rtc_back_len616_factors_11_7_8_wgs_88_tpt_88_dp_op_CI_CI_unitstride_sbrr_dirReg: ; @fft_rtc_back_len616_factors_11_7_8_wgs_88_tpt_88_dp_op_CI_CI_unitstride_sbrr_dirReg
; %bb.0:
	s_clause 0x2
	s_load_b128 s[8:11], s[0:1], 0x0
	s_load_b128 s[4:7], s[0:1], 0x58
	;; [unrolled: 1-line block ×3, first 2 shown]
	v_mul_u32_u24_e32 v1, 0x2e9, v0
	v_mov_b32_e32 v3, 0
	s_delay_alu instid0(VALU_DEP_2) | instskip(NEXT) | instid1(VALU_DEP_1)
	v_lshrrev_b32_e32 v1, 16, v1
	v_add_nc_u32_e32 v5, ttmp9, v1
	v_mov_b32_e32 v1, 0
	v_mov_b32_e32 v2, 0
	;; [unrolled: 1-line block ×3, first 2 shown]
	s_wait_kmcnt 0x0
	v_cmp_lt_u64_e64 s2, s[10:11], 2
	s_delay_alu instid0(VALU_DEP_1)
	s_and_b32 vcc_lo, exec_lo, s2
	s_cbranch_vccnz .LBB0_8
; %bb.1:
	s_load_b64 s[2:3], s[0:1], 0x10
	v_mov_b32_e32 v1, 0
	v_mov_b32_e32 v2, 0
	s_add_nc_u64 s[16:17], s[14:15], 8
	s_add_nc_u64 s[18:19], s[12:13], 8
	s_mov_b64 s[20:21], 1
	s_delay_alu instid0(VALU_DEP_1)
	v_dual_mov_b32 v49, v2 :: v_dual_mov_b32 v48, v1
	s_wait_kmcnt 0x0
	s_add_nc_u64 s[22:23], s[2:3], 8
	s_mov_b32 s3, 0
.LBB0_2:                                ; =>This Inner Loop Header: Depth=1
	s_load_b64 s[24:25], s[22:23], 0x0
                                        ; implicit-def: $vgpr50_vgpr51
	s_mov_b32 s2, exec_lo
	s_wait_kmcnt 0x0
	v_or_b32_e32 v4, s25, v6
	s_delay_alu instid0(VALU_DEP_1)
	v_cmpx_ne_u64_e32 0, v[3:4]
	s_wait_alu 0xfffe
	s_xor_b32 s26, exec_lo, s2
	s_cbranch_execz .LBB0_4
; %bb.3:                                ;   in Loop: Header=BB0_2 Depth=1
	s_cvt_f32_u32 s2, s24
	s_cvt_f32_u32 s27, s25
	s_sub_nc_u64 s[30:31], 0, s[24:25]
	s_wait_alu 0xfffe
	s_delay_alu instid0(SALU_CYCLE_1) | instskip(SKIP_1) | instid1(SALU_CYCLE_2)
	s_fmamk_f32 s2, s27, 0x4f800000, s2
	s_wait_alu 0xfffe
	v_s_rcp_f32 s2, s2
	s_delay_alu instid0(TRANS32_DEP_1) | instskip(SKIP_1) | instid1(SALU_CYCLE_2)
	s_mul_f32 s2, s2, 0x5f7ffffc
	s_wait_alu 0xfffe
	s_mul_f32 s27, s2, 0x2f800000
	s_wait_alu 0xfffe
	s_delay_alu instid0(SALU_CYCLE_2) | instskip(SKIP_1) | instid1(SALU_CYCLE_2)
	s_trunc_f32 s27, s27
	s_wait_alu 0xfffe
	s_fmamk_f32 s2, s27, 0xcf800000, s2
	s_cvt_u32_f32 s29, s27
	s_wait_alu 0xfffe
	s_delay_alu instid0(SALU_CYCLE_1) | instskip(SKIP_1) | instid1(SALU_CYCLE_2)
	s_cvt_u32_f32 s28, s2
	s_wait_alu 0xfffe
	s_mul_u64 s[34:35], s[30:31], s[28:29]
	s_wait_alu 0xfffe
	s_mul_hi_u32 s37, s28, s35
	s_mul_i32 s36, s28, s35
	s_mul_hi_u32 s2, s28, s34
	s_mul_i32 s33, s29, s34
	s_wait_alu 0xfffe
	s_add_nc_u64 s[36:37], s[2:3], s[36:37]
	s_mul_hi_u32 s27, s29, s34
	s_mul_hi_u32 s38, s29, s35
	s_add_co_u32 s2, s36, s33
	s_wait_alu 0xfffe
	s_add_co_ci_u32 s2, s37, s27
	s_mul_i32 s34, s29, s35
	s_add_co_ci_u32 s35, s38, 0
	s_wait_alu 0xfffe
	s_add_nc_u64 s[34:35], s[2:3], s[34:35]
	s_wait_alu 0xfffe
	v_add_co_u32 v4, s2, s28, s34
	s_delay_alu instid0(VALU_DEP_1) | instskip(SKIP_1) | instid1(VALU_DEP_1)
	s_cmp_lg_u32 s2, 0
	s_add_co_ci_u32 s29, s29, s35
	v_readfirstlane_b32 s28, v4
	s_wait_alu 0xfffe
	s_delay_alu instid0(VALU_DEP_1)
	s_mul_u64 s[30:31], s[30:31], s[28:29]
	s_wait_alu 0xfffe
	s_mul_hi_u32 s35, s28, s31
	s_mul_i32 s34, s28, s31
	s_mul_hi_u32 s2, s28, s30
	s_mul_i32 s33, s29, s30
	s_wait_alu 0xfffe
	s_add_nc_u64 s[34:35], s[2:3], s[34:35]
	s_mul_hi_u32 s27, s29, s30
	s_mul_hi_u32 s28, s29, s31
	s_wait_alu 0xfffe
	s_add_co_u32 s2, s34, s33
	s_add_co_ci_u32 s2, s35, s27
	s_mul_i32 s30, s29, s31
	s_add_co_ci_u32 s31, s28, 0
	s_wait_alu 0xfffe
	s_add_nc_u64 s[30:31], s[2:3], s[30:31]
	s_wait_alu 0xfffe
	v_add_co_u32 v4, s2, v4, s30
	s_delay_alu instid0(VALU_DEP_1) | instskip(SKIP_1) | instid1(VALU_DEP_1)
	s_cmp_lg_u32 s2, 0
	s_add_co_ci_u32 s2, s29, s31
	v_mul_hi_u32 v13, v5, v4
	s_wait_alu 0xfffe
	v_mad_co_u64_u32 v[7:8], null, v5, s2, 0
	v_mad_co_u64_u32 v[9:10], null, v6, v4, 0
	;; [unrolled: 1-line block ×3, first 2 shown]
	s_delay_alu instid0(VALU_DEP_3) | instskip(SKIP_1) | instid1(VALU_DEP_4)
	v_add_co_u32 v4, vcc_lo, v13, v7
	s_wait_alu 0xfffd
	v_add_co_ci_u32_e32 v7, vcc_lo, 0, v8, vcc_lo
	s_delay_alu instid0(VALU_DEP_2) | instskip(SKIP_1) | instid1(VALU_DEP_2)
	v_add_co_u32 v4, vcc_lo, v4, v9
	s_wait_alu 0xfffd
	v_add_co_ci_u32_e32 v4, vcc_lo, v7, v10, vcc_lo
	s_wait_alu 0xfffd
	v_add_co_ci_u32_e32 v7, vcc_lo, 0, v12, vcc_lo
	s_delay_alu instid0(VALU_DEP_2) | instskip(SKIP_1) | instid1(VALU_DEP_2)
	v_add_co_u32 v4, vcc_lo, v4, v11
	s_wait_alu 0xfffd
	v_add_co_ci_u32_e32 v9, vcc_lo, 0, v7, vcc_lo
	s_delay_alu instid0(VALU_DEP_2) | instskip(SKIP_1) | instid1(VALU_DEP_3)
	v_mul_lo_u32 v10, s25, v4
	v_mad_co_u64_u32 v[7:8], null, s24, v4, 0
	v_mul_lo_u32 v11, s24, v9
	s_delay_alu instid0(VALU_DEP_2) | instskip(NEXT) | instid1(VALU_DEP_2)
	v_sub_co_u32 v7, vcc_lo, v5, v7
	v_add3_u32 v8, v8, v11, v10
	s_delay_alu instid0(VALU_DEP_1) | instskip(SKIP_1) | instid1(VALU_DEP_1)
	v_sub_nc_u32_e32 v10, v6, v8
	s_wait_alu 0xfffd
	v_subrev_co_ci_u32_e64 v10, s2, s25, v10, vcc_lo
	v_add_co_u32 v11, s2, v4, 2
	s_wait_alu 0xf1ff
	v_add_co_ci_u32_e64 v12, s2, 0, v9, s2
	v_sub_co_u32 v13, s2, v7, s24
	v_sub_co_ci_u32_e32 v8, vcc_lo, v6, v8, vcc_lo
	s_wait_alu 0xf1ff
	v_subrev_co_ci_u32_e64 v10, s2, 0, v10, s2
	s_delay_alu instid0(VALU_DEP_3) | instskip(NEXT) | instid1(VALU_DEP_3)
	v_cmp_le_u32_e32 vcc_lo, s24, v13
	v_cmp_eq_u32_e64 s2, s25, v8
	s_wait_alu 0xfffd
	v_cndmask_b32_e64 v13, 0, -1, vcc_lo
	v_cmp_le_u32_e32 vcc_lo, s25, v10
	s_wait_alu 0xfffd
	v_cndmask_b32_e64 v14, 0, -1, vcc_lo
	v_cmp_le_u32_e32 vcc_lo, s24, v7
	;; [unrolled: 3-line block ×3, first 2 shown]
	s_wait_alu 0xfffd
	v_cndmask_b32_e64 v15, 0, -1, vcc_lo
	v_cmp_eq_u32_e32 vcc_lo, s25, v10
	s_wait_alu 0xf1ff
	s_delay_alu instid0(VALU_DEP_2)
	v_cndmask_b32_e64 v7, v15, v7, s2
	s_wait_alu 0xfffd
	v_cndmask_b32_e32 v10, v14, v13, vcc_lo
	v_add_co_u32 v13, vcc_lo, v4, 1
	s_wait_alu 0xfffd
	v_add_co_ci_u32_e32 v14, vcc_lo, 0, v9, vcc_lo
	s_delay_alu instid0(VALU_DEP_3) | instskip(SKIP_1) | instid1(VALU_DEP_2)
	v_cmp_ne_u32_e32 vcc_lo, 0, v10
	s_wait_alu 0xfffd
	v_cndmask_b32_e32 v8, v14, v12, vcc_lo
	v_cndmask_b32_e32 v10, v13, v11, vcc_lo
	v_cmp_ne_u32_e32 vcc_lo, 0, v7
	s_wait_alu 0xfffd
	s_delay_alu instid0(VALU_DEP_2)
	v_dual_cndmask_b32 v51, v9, v8 :: v_dual_cndmask_b32 v50, v4, v10
.LBB0_4:                                ;   in Loop: Header=BB0_2 Depth=1
	s_wait_alu 0xfffe
	s_and_not1_saveexec_b32 s2, s26
	s_cbranch_execz .LBB0_6
; %bb.5:                                ;   in Loop: Header=BB0_2 Depth=1
	v_cvt_f32_u32_e32 v4, s24
	s_sub_co_i32 s26, 0, s24
	v_mov_b32_e32 v51, v3
	s_delay_alu instid0(VALU_DEP_2) | instskip(NEXT) | instid1(TRANS32_DEP_1)
	v_rcp_iflag_f32_e32 v4, v4
	v_mul_f32_e32 v4, 0x4f7ffffe, v4
	s_delay_alu instid0(VALU_DEP_1) | instskip(SKIP_1) | instid1(VALU_DEP_1)
	v_cvt_u32_f32_e32 v4, v4
	s_wait_alu 0xfffe
	v_mul_lo_u32 v7, s26, v4
	s_delay_alu instid0(VALU_DEP_1) | instskip(NEXT) | instid1(VALU_DEP_1)
	v_mul_hi_u32 v7, v4, v7
	v_add_nc_u32_e32 v4, v4, v7
	s_delay_alu instid0(VALU_DEP_1) | instskip(NEXT) | instid1(VALU_DEP_1)
	v_mul_hi_u32 v4, v5, v4
	v_mul_lo_u32 v7, v4, s24
	v_add_nc_u32_e32 v8, 1, v4
	s_delay_alu instid0(VALU_DEP_2) | instskip(NEXT) | instid1(VALU_DEP_1)
	v_sub_nc_u32_e32 v7, v5, v7
	v_subrev_nc_u32_e32 v9, s24, v7
	v_cmp_le_u32_e32 vcc_lo, s24, v7
	s_wait_alu 0xfffd
	s_delay_alu instid0(VALU_DEP_2) | instskip(NEXT) | instid1(VALU_DEP_1)
	v_dual_cndmask_b32 v7, v7, v9 :: v_dual_cndmask_b32 v4, v4, v8
	v_cmp_le_u32_e32 vcc_lo, s24, v7
	s_delay_alu instid0(VALU_DEP_2) | instskip(SKIP_1) | instid1(VALU_DEP_1)
	v_add_nc_u32_e32 v8, 1, v4
	s_wait_alu 0xfffd
	v_cndmask_b32_e32 v50, v4, v8, vcc_lo
.LBB0_6:                                ;   in Loop: Header=BB0_2 Depth=1
	s_wait_alu 0xfffe
	s_or_b32 exec_lo, exec_lo, s2
	v_mul_lo_u32 v4, v51, s24
	s_delay_alu instid0(VALU_DEP_2)
	v_mul_lo_u32 v9, v50, s25
	s_load_b64 s[26:27], s[18:19], 0x0
	v_mad_co_u64_u32 v[7:8], null, v50, s24, 0
	s_load_b64 s[24:25], s[16:17], 0x0
	s_add_nc_u64 s[20:21], s[20:21], 1
	s_add_nc_u64 s[16:17], s[16:17], 8
	s_wait_alu 0xfffe
	v_cmp_ge_u64_e64 s2, s[20:21], s[10:11]
	s_add_nc_u64 s[18:19], s[18:19], 8
	s_add_nc_u64 s[22:23], s[22:23], 8
	v_add3_u32 v4, v8, v9, v4
	v_sub_co_u32 v5, vcc_lo, v5, v7
	s_wait_alu 0xfffd
	s_delay_alu instid0(VALU_DEP_2) | instskip(SKIP_2) | instid1(VALU_DEP_1)
	v_sub_co_ci_u32_e32 v4, vcc_lo, v6, v4, vcc_lo
	s_and_b32 vcc_lo, exec_lo, s2
	s_wait_kmcnt 0x0
	v_mul_lo_u32 v6, s26, v4
	v_mul_lo_u32 v7, s27, v5
	v_mad_co_u64_u32 v[1:2], null, s26, v5, v[1:2]
	v_mul_lo_u32 v4, s24, v4
	v_mul_lo_u32 v8, s25, v5
	v_mad_co_u64_u32 v[48:49], null, s24, v5, v[48:49]
	s_delay_alu instid0(VALU_DEP_4) | instskip(NEXT) | instid1(VALU_DEP_2)
	v_add3_u32 v2, v7, v2, v6
	v_add3_u32 v49, v8, v49, v4
	s_wait_alu 0xfffe
	s_cbranch_vccnz .LBB0_9
; %bb.7:                                ;   in Loop: Header=BB0_2 Depth=1
	v_dual_mov_b32 v5, v50 :: v_dual_mov_b32 v6, v51
	s_branch .LBB0_2
.LBB0_8:
	v_dual_mov_b32 v49, v2 :: v_dual_mov_b32 v48, v1
	v_dual_mov_b32 v51, v6 :: v_dual_mov_b32 v50, v5
.LBB0_9:
	s_load_b64 s[0:1], s[0:1], 0x28
	v_mul_hi_u32 v3, 0x2e8ba2f, v0
	s_lshl_b64 s[2:3], s[10:11], 3
                                        ; implicit-def: $vgpr38_vgpr39
                                        ; implicit-def: $vgpr42_vgpr43
                                        ; implicit-def: $vgpr34_vgpr35
                                        ; implicit-def: $vgpr26_vgpr27
                                        ; implicit-def: $vgpr6_vgpr7
                                        ; implicit-def: $vgpr10_vgpr11
                                        ; implicit-def: $vgpr14_vgpr15
                                        ; implicit-def: $vgpr18_vgpr19
                                        ; implicit-def: $vgpr30_vgpr31
                                        ; implicit-def: $vgpr46_vgpr47
                                        ; implicit-def: $vgpr22_vgpr23
	s_delay_alu instid0(VALU_DEP_1) | instskip(NEXT) | instid1(VALU_DEP_1)
	v_mul_u32_u24_e32 v3, 0x58, v3
	v_sub_nc_u32_e32 v52, v0, v3
	s_wait_kmcnt 0x0
	v_cmp_gt_u64_e32 vcc_lo, s[0:1], v[50:51]
	s_delay_alu instid0(VALU_DEP_2) | instskip(NEXT) | instid1(VALU_DEP_1)
	v_cmp_gt_u32_e64 s0, 56, v52
	s_and_b32 s1, vcc_lo, s0
	s_wait_alu 0xfffe
	s_and_saveexec_b32 s10, s1
	s_cbranch_execz .LBB0_11
; %bb.10:
	s_add_nc_u64 s[12:13], s[12:13], s[2:3]
	v_mov_b32_e32 v53, 0
	s_load_b64 s[12:13], s[12:13], 0x0
	s_wait_kmcnt 0x0
	v_mul_lo_u32 v0, s13, v50
	v_mul_lo_u32 v5, s12, v51
	v_mad_co_u64_u32 v[3:4], null, s12, v50, 0
	s_delay_alu instid0(VALU_DEP_1) | instskip(SKIP_1) | instid1(VALU_DEP_2)
	v_add3_u32 v4, v4, v5, v0
	v_lshlrev_b64_e32 v[0:1], 4, v[1:2]
	v_lshlrev_b64_e32 v[3:4], 4, v[3:4]
	s_delay_alu instid0(VALU_DEP_1) | instskip(SKIP_1) | instid1(VALU_DEP_2)
	v_add_co_u32 v5, s1, s4, v3
	s_wait_alu 0xf1ff
	v_add_co_ci_u32_e64 v4, s1, s5, v4, s1
	v_lshlrev_b64_e32 v[2:3], 4, v[52:53]
	s_delay_alu instid0(VALU_DEP_3) | instskip(SKIP_1) | instid1(VALU_DEP_3)
	v_add_co_u32 v0, s1, v5, v0
	s_wait_alu 0xf1ff
	v_add_co_ci_u32_e64 v1, s1, v4, v1, s1
	s_delay_alu instid0(VALU_DEP_2) | instskip(SKIP_1) | instid1(VALU_DEP_2)
	v_add_co_u32 v0, s1, v0, v2
	s_wait_alu 0xf1ff
	v_add_co_ci_u32_e64 v1, s1, v1, v3, s1
	s_clause 0xa
	global_load_b128 v[20:23], v[0:1], off
	global_load_b128 v[36:39], v[0:1], off offset:896
	global_load_b128 v[44:47], v[0:1], off offset:1792
	;; [unrolled: 1-line block ×10, first 2 shown]
.LBB0_11:
	s_wait_alu 0xfffe
	s_or_b32 exec_lo, exec_lo, s10
	s_wait_loadcnt 0x0
	v_add_f64_e64 v[79:80], v[38:39], -v[6:7]
	v_add_f64_e64 v[93:94], v[36:37], -v[4:5]
	s_mov_b32 s4, 0xbb3a28a1
	s_mov_b32 s5, 0xbfe82f19
	v_add_f64_e32 v[111:112], v[36:37], v[4:5]
	v_add_f64_e64 v[73:74], v[46:47], -v[10:11]
	v_add_f64_e32 v[81:82], v[38:39], v[6:7]
	v_add_f64_e64 v[91:92], v[44:45], -v[8:9]
	s_mov_b32 s10, 0x7f775887
	s_mov_b32 s12, 0x43842ef
	;; [unrolled: 1-line block ×4, first 2 shown]
	v_add_f64_e32 v[103:104], v[8:9], v[44:45]
	v_add_f64_e64 v[87:88], v[42:43], -v[14:15]
	v_add_f64_e32 v[71:72], v[10:11], v[46:47]
	v_add_f64_e64 v[101:102], v[40:41], -v[12:13]
	s_mov_b32 s16, 0x640f44db
	s_mov_b32 s18, 0xf8bb580b
	;; [unrolled: 1-line block ×4, first 2 shown]
	v_add_f64_e32 v[109:110], v[40:41], v[12:13]
	v_add_f64_e32 v[75:76], v[42:43], v[14:15]
	v_add_f64_e64 v[53:54], v[34:35], -v[18:19]
	v_add_f64_e64 v[83:84], v[32:33], -v[16:17]
	s_mov_b32 s20, 0x8764f0ba
	s_mov_b32 s22, 0xfd768dbf
	;; [unrolled: 1-line block ×4, first 2 shown]
	v_add_f64_e32 v[77:78], v[32:33], v[16:17]
	v_add_f64_e32 v[59:60], v[34:35], v[18:19]
	v_add_f64_e64 v[55:56], v[30:31], -v[26:27]
	v_add_f64_e64 v[69:70], v[28:29], -v[24:25]
	s_mov_b32 s24, 0x9bcd5057
	s_mov_b32 s26, 0x8eee2c13
	;; [unrolled: 1-line block ×4, first 2 shown]
	v_add_f64_e32 v[85:86], v[24:25], v[28:29]
	s_mov_b32 s28, 0xd9c712b6
	s_wait_alu 0xfffe
	v_mul_f64_e32 v[89:90], s[4:5], v[79:80]
	v_mul_f64_e32 v[97:98], s[4:5], v[93:94]
	s_mov_b32 s29, 0x3fda9628
	s_add_nc_u64 s[2:3], s[14:15], s[2:3]
	v_mul_f64_e32 v[95:96], s[12:13], v[73:74]
	v_mul_f64_e32 v[99:100], s[12:13], v[91:92]
	;; [unrolled: 1-line block ×7, first 2 shown]
	v_fma_f64 v[0:1], v[111:112], s[10:11], -v[89:90]
	v_fma_f64 v[2:3], v[81:82], s[10:11], v[97:98]
	v_fma_f64 v[57:58], v[103:104], s[16:17], -v[95:96]
	v_fma_f64 v[61:62], v[71:72], s[16:17], v[99:100]
	;; [unrolled: 2-line block ×4, first 2 shown]
	v_add_f64_e32 v[0:1], v[0:1], v[20:21]
	v_add_f64_e32 v[2:3], v[2:3], v[22:23]
	s_delay_alu instid0(VALU_DEP_2) | instskip(NEXT) | instid1(VALU_DEP_2)
	v_add_f64_e32 v[0:1], v[57:58], v[0:1]
	v_add_f64_e32 v[2:3], v[2:3], v[61:62]
	;; [unrolled: 1-line block ×3, first 2 shown]
	v_mul_f64_e32 v[61:62], s[26:27], v[55:56]
	s_delay_alu instid0(VALU_DEP_4) | instskip(NEXT) | instid1(VALU_DEP_4)
	v_add_f64_e32 v[0:1], v[113:114], v[0:1]
	v_add_f64_e32 v[2:3], v[115:116], v[2:3]
	s_wait_alu 0xfffe
	s_delay_alu instid0(VALU_DEP_4) | instskip(NEXT) | instid1(VALU_DEP_4)
	v_fma_f64 v[115:116], v[57:58], s[28:29], v[63:64]
	v_fma_f64 v[113:114], v[85:86], s[28:29], -v[61:62]
	s_delay_alu instid0(VALU_DEP_4) | instskip(NEXT) | instid1(VALU_DEP_4)
	v_add_f64_e32 v[0:1], v[117:118], v[0:1]
	v_add_f64_e32 v[2:3], v[119:120], v[2:3]
	s_delay_alu instid0(VALU_DEP_2) | instskip(NEXT) | instid1(VALU_DEP_2)
	v_add_f64_e32 v[0:1], v[113:114], v[0:1]
	v_add_f64_e32 v[2:3], v[115:116], v[2:3]
	s_and_saveexec_b32 s33, s0
	s_cbranch_execz .LBB0_13
; %bb.12:
	v_add_f64_e32 v[38:39], v[38:39], v[22:23]
	v_add_f64_e32 v[36:37], v[36:37], v[20:21]
	s_mov_b32 s1, 0xbfefac9e
	s_mov_b32 s0, s12
	;; [unrolled: 1-line block ×4, first 2 shown]
	v_mul_f64_e32 v[113:114], s[16:17], v[111:112]
	v_mul_f64_e32 v[115:116], s[28:29], v[111:112]
	;; [unrolled: 1-line block ×7, first 2 shown]
	s_wait_alu 0xfffe
	v_mul_f64_e32 v[137:138], s[0:1], v[93:94]
	s_mov_b32 s15, 0x3fe14ced
	s_mov_b32 s14, s18
	;; [unrolled: 1-line block ×4, first 2 shown]
	v_mul_f64_e32 v[127:128], s[20:21], v[109:110]
	v_mul_f64_e32 v[133:134], s[28:29], v[109:110]
	;; [unrolled: 1-line block ×9, first 2 shown]
	s_mov_b32 s37, 0x3fe82f19
	s_mov_b32 s36, s4
	v_mul_f64_e32 v[145:146], s[4:5], v[91:92]
	v_mul_f64_e32 v[147:148], s[4:5], v[101:102]
	;; [unrolled: 1-line block ×5, first 2 shown]
	v_add_f64_e32 v[38:39], v[46:47], v[38:39]
	v_add_f64_e32 v[36:37], v[44:45], v[36:37]
	v_mul_f64_e32 v[44:45], s[22:23], v[93:94]
	v_mul_f64_e32 v[46:47], s[24:25], v[111:112]
	;; [unrolled: 1-line block ×3, first 2 shown]
	v_add_f64_e64 v[107:108], v[121:122], -v[107:108]
	v_add_f64_e64 v[99:100], v[123:124], -v[99:100]
	v_add_f64_e32 v[95:96], v[95:96], v[129:130]
	v_fma_f64 v[121:122], v[87:88], s[36:37], v[131:132]
	v_fma_f64 v[123:124], v[87:88], s[4:5], v[131:132]
	;; [unrolled: 1-line block ×3, first 2 shown]
	v_fma_f64 v[131:132], v[81:82], s[16:17], -v[137:138]
	v_add_f64_e32 v[105:106], v[105:106], v[127:128]
	v_fma_f64 v[127:128], v[87:88], s[34:35], v[133:134]
	v_fma_f64 v[159:160], v[87:88], s[12:13], v[109:110]
	;; [unrolled: 1-line block ×4, first 2 shown]
	v_add_f64_e32 v[65:66], v[65:66], v[125:126]
	v_add_f64_e32 v[38:39], v[42:43], v[38:39]
	;; [unrolled: 1-line block ×3, first 2 shown]
	v_mul_f64_e32 v[40:41], s[10:11], v[81:82]
	v_mul_f64_e32 v[42:43], s[10:11], v[111:112]
	;; [unrolled: 1-line block ×3, first 2 shown]
	v_fma_f64 v[153:154], v[81:82], s[24:25], v[44:45]
	s_wait_alu 0xfffe
	v_fma_f64 v[155:156], v[79:80], s[30:31], v[46:47]
	v_fma_f64 v[44:45], v[81:82], s[24:25], -v[44:45]
	v_fma_f64 v[46:47], v[79:80], s[22:23], v[46:47]
	v_fma_f64 v[137:138], v[81:82], s[28:29], v[93:94]
	v_add_f64_e32 v[34:35], v[34:35], v[38:39]
	v_add_f64_e32 v[32:33], v[32:33], v[36:37]
	v_add_f64_e64 v[40:41], v[40:41], -v[97:98]
	v_add_f64_e32 v[42:43], v[89:90], v[42:43]
	v_fma_f64 v[89:90], v[79:80], s[12:13], v[113:114]
	v_fma_f64 v[97:98], v[79:80], s[0:1], v[113:114]
	;; [unrolled: 1-line block ×7, first 2 shown]
	v_fma_f64 v[117:118], v[81:82], s[20:21], -v[117:118]
	v_fma_f64 v[81:82], v[81:82], s[28:29], -v[93:94]
	v_mul_f64_e32 v[36:37], s[30:31], v[91:92]
	v_mul_f64_e32 v[38:39], s[34:35], v[91:92]
	;; [unrolled: 1-line block ×4, first 2 shown]
	v_fma_f64 v[93:94], v[87:88], s[26:27], v[133:134]
	v_fma_f64 v[133:134], v[87:88], s[22:23], v[135:136]
	;; [unrolled: 1-line block ×6, first 2 shown]
	v_add_f64_e32 v[153:154], v[153:154], v[22:23]
	v_add_f64_e32 v[155:156], v[155:156], v[20:21]
	;; [unrolled: 1-line block ×8, first 2 shown]
	v_fma_f64 v[32:33], v[73:74], s[22:23], v[141:142]
	v_fma_f64 v[34:35], v[73:74], s[30:31], v[141:142]
	;; [unrolled: 1-line block ×5, first 2 shown]
	v_fma_f64 v[103:104], v[71:72], s[20:21], -v[151:152]
	v_fma_f64 v[151:152], v[71:72], s[10:11], v[145:146]
	v_fma_f64 v[145:146], v[71:72], s[10:11], -v[145:146]
	v_add_f64_e32 v[89:90], v[89:90], v[20:21]
	v_add_f64_e32 v[97:98], v[97:98], v[20:21]
	;; [unrolled: 1-line block ×12, first 2 shown]
	v_fma_f64 v[81:82], v[75:76], s[10:11], v[147:148]
	v_fma_f64 v[137:138], v[75:76], s[10:11], -v[147:148]
	v_fma_f64 v[147:148], v[71:72], s[24:25], v[36:37]
	v_fma_f64 v[36:37], v[71:72], s[24:25], -v[36:37]
	;; [unrolled: 2-line block ×4, first 2 shown]
	v_add_f64_e32 v[153:154], v[153:154], v[161:162]
	v_mul_f64_e32 v[161:162], s[18:19], v[83:84]
	v_add_f64_e32 v[109:110], v[109:110], v[155:156]
	v_mul_f64_e32 v[155:156], s[12:13], v[83:84]
	;; [unrolled: 2-line block ×3, first 2 shown]
	v_add_f64_e32 v[26:27], v[26:27], v[30:31]
	v_add_f64_e32 v[24:25], v[24:25], v[28:29]
	;; [unrolled: 1-line block ×4, first 2 shown]
	v_fma_f64 v[28:29], v[75:76], s[24:25], v[91:92]
	v_fma_f64 v[30:31], v[75:76], s[24:25], -v[91:92]
	v_fma_f64 v[91:92], v[75:76], s[16:17], v[101:102]
	v_fma_f64 v[75:76], v[75:76], s[16:17], -v[101:102]
	v_mul_f64_e32 v[101:102], s[26:27], v[83:84]
	v_mul_f64_e32 v[83:84], s[4:5], v[83:84]
	v_add_f64_e32 v[44:45], v[44:45], v[103:104]
	v_mul_f64_e32 v[103:104], s[28:29], v[77:78]
	v_mul_f64_e32 v[99:100], s[16:17], v[77:78]
	;; [unrolled: 1-line block ×3, first 2 shown]
	v_add_f64_e32 v[32:33], v[32:33], v[89:90]
	v_add_f64_e32 v[34:35], v[34:35], v[97:98]
	;; [unrolled: 1-line block ×4, first 2 shown]
	v_mul_f64_e32 v[95:96], s[28:29], v[57:58]
	v_add_f64_e32 v[20:21], v[73:74], v[20:21]
	v_mul_f64_e32 v[89:90], s[28:29], v[85:86]
	v_mul_f64_e32 v[97:98], s[16:17], v[85:86]
	v_mul_f64_e32 v[73:74], s[0:1], v[69:70]
	v_add_f64_e32 v[22:23], v[22:23], v[145:146]
	v_mul_f64_e32 v[141:142], s[10:11], v[85:86]
	v_mul_f64_e32 v[143:144], s[20:21], v[85:86]
	v_add_f64_e32 v[79:80], v[79:80], v[147:148]
	v_add_f64_e32 v[36:37], v[129:130], v[36:37]
	;; [unrolled: 1-line block ×5, first 2 shown]
	v_mul_f64_e32 v[85:86], s[24:25], v[85:86]
	v_mul_f64_e32 v[165:166], s[4:5], v[69:70]
	v_fma_f64 v[125:126], v[59:60], s[20:21], -v[161:162]
	v_mul_f64_e32 v[117:118], s[22:23], v[69:70]
	v_fma_f64 v[131:132], v[59:60], s[16:17], v[155:156]
	v_fma_f64 v[145:146], v[59:60], s[16:17], -v[155:156]
	v_add_f64_e32 v[46:47], v[123:124], v[46:47]
	v_add_f64_e32 v[18:19], v[18:19], v[26:27]
	;; [unrolled: 1-line block ×4, first 2 shown]
	v_add_f64_e64 v[26:27], v[119:120], -v[67:68]
	v_add_f64_e32 v[40:41], v[107:108], v[40:41]
	v_add_f64_e32 v[42:43], v[105:106], v[42:43]
	v_fma_f64 v[119:120], v[59:60], s[20:21], v[161:162]
	v_mul_f64_e32 v[69:70], s[14:15], v[69:70]
	v_fma_f64 v[67:68], v[59:60], s[28:29], v[101:102]
	v_fma_f64 v[101:102], v[59:60], s[28:29], -v[101:102]
	v_fma_f64 v[147:148], v[59:60], s[10:11], v[83:84]
	v_fma_f64 v[59:60], v[59:60], s[10:11], -v[83:84]
	v_fma_f64 v[83:84], v[53:54], s[34:35], v[103:104]
	v_fma_f64 v[103:104], v[53:54], s[26:27], v[103:104]
	v_add_f64_e32 v[44:45], v[137:138], v[44:45]
	v_fma_f64 v[151:152], v[53:54], s[14:15], v[139:140]
	v_fma_f64 v[139:140], v[53:54], s[18:19], v[139:140]
	;; [unrolled: 1-line block ×6, first 2 shown]
	v_add_f64_e32 v[77:78], v[81:82], v[153:154]
	v_add_f64_e32 v[81:82], v[121:122], v[109:110]
	;; [unrolled: 1-line block ×13, first 2 shown]
	v_fma_f64 v[109:110], v[57:58], s[16:17], v[73:74]
	v_fma_f64 v[73:74], v[57:58], s[16:17], -v[73:74]
	v_fma_f64 v[71:72], v[55:56], s[36:37], v[141:142]
	v_fma_f64 v[75:76], v[55:56], s[4:5], v[141:142]
	v_add_f64_e32 v[14:15], v[14:15], v[18:19]
	v_add_f64_e32 v[12:13], v[12:13], v[16:17]
	;; [unrolled: 1-line block ×3, first 2 shown]
	v_add_f64_e64 v[18:19], v[95:96], -v[63:64]
	v_add_f64_e32 v[24:25], v[61:62], v[89:90]
	v_add_f64_e32 v[26:27], v[26:27], v[40:41]
	;; [unrolled: 1-line block ×3, first 2 shown]
	v_fma_f64 v[63:64], v[55:56], s[0:1], v[97:98]
	v_fma_f64 v[61:62], v[55:56], s[12:13], v[97:98]
	v_fma_f64 v[79:80], v[55:56], s[18:19], v[143:144]
	v_fma_f64 v[87:88], v[55:56], s[14:15], v[143:144]
	v_fma_f64 v[89:90], v[55:56], s[30:31], v[85:86]
	v_fma_f64 v[55:56], v[55:56], s[22:23], v[85:86]
	v_add_f64_e32 v[46:47], v[103:104], v[46:47]
	v_add_f64_e32 v[44:45], v[101:102], v[44:45]
	v_fma_f64 v[85:86], v[57:58], s[10:11], v[165:166]
	v_fma_f64 v[95:96], v[57:58], s[10:11], -v[165:166]
	v_fma_f64 v[97:98], v[57:58], s[24:25], v[117:118]
	v_fma_f64 v[107:108], v[57:58], s[24:25], -v[117:118]
	;; [unrolled: 2-line block ×3, first 2 shown]
	v_add_f64_e32 v[67:68], v[67:68], v[77:78]
	v_add_f64_e32 v[69:70], v[83:84], v[81:82]
	;; [unrolled: 1-line block ×20, first 2 shown]
	v_mad_u32_u24 v44, 0xb0, v52, 0
	v_add_f64_e32 v[10:11], v[109:110], v[67:68]
	v_add_f64_e32 v[8:9], v[61:62], v[69:70]
	;; [unrolled: 1-line block ×16, first 2 shown]
	ds_store_b128 v44, v[16:19] offset:64
	ds_store_b128 v44, v[12:15] offset:80
	;; [unrolled: 1-line block ×9, first 2 shown]
	ds_store_b128 v44, v[4:7]
	ds_store_b128 v44, v[36:39] offset:160
.LBB0_13:
	s_or_b32 exec_lo, exec_lo, s33
	v_and_b32_e32 v4, 0xff, v52
	s_load_b64 s[2:3], s[2:3], 0x0
	global_wb scope:SCOPE_SE
	s_wait_dscnt 0x0
	s_wait_kmcnt 0x0
	s_barrier_signal -1
	s_barrier_wait -1
	v_mul_lo_u16 v4, 0x75, v4
	global_inv scope:SCOPE_SE
	v_lshl_add_u32 v32, v52, 4, 0
	s_mov_b32 s0, 0x37e14327
	s_mov_b32 s1, 0x3fe948f6
	v_lshrrev_b16 v4, 8, v4
	s_mov_b32 s4, 0x36b3c0b5
	s_mov_b32 s10, 0xe976ee23
	;; [unrolled: 1-line block ×4, first 2 shown]
	v_sub_nc_u16 v5, v52, v4
	s_mov_b32 s13, 0x3fe77f67
	s_mov_b32 s12, 0x5476071b
	;; [unrolled: 1-line block ×4, first 2 shown]
	v_lshrrev_b16 v5, 1, v5
	s_delay_alu instid0(VALU_DEP_1) | instskip(NEXT) | instid1(VALU_DEP_1)
	v_and_b32_e32 v5, 0x7f, v5
	v_add_nc_u16 v4, v5, v4
	s_delay_alu instid0(VALU_DEP_1) | instskip(NEXT) | instid1(VALU_DEP_1)
	v_lshrrev_b16 v47, 3, v4
	v_mul_lo_u16 v4, v47, 11
	s_delay_alu instid0(VALU_DEP_1) | instskip(NEXT) | instid1(VALU_DEP_1)
	v_sub_nc_u16 v4, v52, v4
	v_and_b32_e32 v71, 0xff, v4
	s_delay_alu instid0(VALU_DEP_1) | instskip(NEXT) | instid1(VALU_DEP_1)
	v_mul_u32_u24_e32 v4, 6, v71
	v_lshlrev_b32_e32 v24, 4, v4
	s_clause 0x5
	global_load_b128 v[4:7], v24, s[8:9]
	global_load_b128 v[8:11], v24, s[8:9] offset:16
	global_load_b128 v[12:15], v24, s[8:9] offset:80
	;; [unrolled: 1-line block ×5, first 2 shown]
	ds_load_b128 v[28:31], v32 offset:1408
	ds_load_b128 v[33:36], v32 offset:2816
	;; [unrolled: 1-line block ×6, first 2 shown]
	s_wait_loadcnt_dscnt 0x505
	v_mul_f64_e32 v[45:46], v[30:31], v[6:7]
	v_mul_f64_e32 v[6:7], v[28:29], v[6:7]
	s_wait_loadcnt_dscnt 0x404
	v_mul_f64_e32 v[61:62], v[35:36], v[10:11]
	v_mul_f64_e32 v[10:11], v[33:34], v[10:11]
	;; [unrolled: 3-line block ×6, first 2 shown]
	v_fma_f64 v[28:29], v[28:29], v[4:5], v[45:46]
	v_fma_f64 v[4:5], v[30:31], v[4:5], -v[6:7]
	v_fma_f64 v[6:7], v[33:34], v[8:9], v[61:62]
	v_fma_f64 v[8:9], v[35:36], v[8:9], -v[10:11]
	;; [unrolled: 2-line block ×6, first 2 shown]
	v_add_f64_e32 v[26:27], v[28:29], v[10:11]
	v_add_f64_e32 v[30:31], v[4:5], v[12:13]
	;; [unrolled: 1-line block ×4, first 2 shown]
	v_add_f64_e64 v[14:15], v[6:7], -v[14:15]
	v_add_f64_e64 v[8:9], v[8:9], -v[16:17]
	v_add_f64_e32 v[37:38], v[18:19], v[22:23]
	v_add_f64_e32 v[39:40], v[20:21], v[24:25]
	v_add_f64_e64 v[16:17], v[22:23], -v[18:19]
	v_add_f64_e64 v[18:19], v[24:25], -v[20:21]
	;; [unrolled: 1-line block ×4, first 2 shown]
	v_add_f64_e32 v[4:5], v[33:34], v[26:27]
	v_add_f64_e32 v[6:7], v[35:36], v[30:31]
	v_add_f64_e64 v[20:21], v[26:27], -v[37:38]
	v_add_f64_e64 v[22:23], v[30:31], -v[39:40]
	;; [unrolled: 1-line block ×10, first 2 shown]
	v_add_f64_e32 v[14:15], v[16:17], v[14:15]
	v_add_f64_e32 v[8:9], v[18:19], v[8:9]
	v_add_f64_e64 v[16:17], v[10:11], -v[16:17]
	v_add_f64_e64 v[18:19], v[12:13], -v[18:19]
	v_add_f64_e32 v[37:38], v[37:38], v[4:5]
	v_add_f64_e32 v[39:40], v[39:40], v[6:7]
	ds_load_b128 v[4:7], v32
	global_wb scope:SCOPE_SE
	s_wait_dscnt 0x0
	s_wait_alu 0xfffe
	v_mul_f64_e32 v[20:21], s[0:1], v[20:21]
	v_mul_f64_e32 v[22:23], s[0:1], v[22:23]
	s_mov_b32 s0, 0x429ad128
	v_mul_f64_e32 v[33:34], s[4:5], v[24:25]
	v_mul_f64_e32 v[35:36], s[4:5], v[28:29]
	;; [unrolled: 1-line block ×4, first 2 shown]
	s_mov_b32 s1, 0xbfebfeb5
	s_mov_b32 s10, 0xaaaaaaaa
	s_wait_alu 0xfffe
	v_mul_f64_e32 v[55:56], s[0:1], v[45:46]
	v_mul_f64_e32 v[57:58], s[0:1], v[53:54]
	s_mov_b32 s11, 0xbff2aaaa
	v_add_f64_e32 v[10:11], v[14:15], v[10:11]
	v_add_f64_e32 v[8:9], v[8:9], v[12:13]
	s_barrier_signal -1
	s_barrier_wait -1
	global_inv scope:SCOPE_SE
	v_add_f64_e32 v[4:5], v[4:5], v[37:38]
	v_add_f64_e32 v[6:7], v[6:7], v[39:40]
	v_fma_f64 v[12:13], v[24:25], s[4:5], v[20:21]
	v_fma_f64 v[14:15], v[28:29], s[4:5], v[22:23]
	v_fma_f64 v[24:25], v[26:27], s[12:13], -v[33:34]
	v_fma_f64 v[28:29], v[30:31], s[12:13], -v[35:36]
	s_mov_b32 s13, 0xbfe77f67
	v_fma_f64 v[33:34], v[16:17], s[14:15], v[41:42]
	v_fma_f64 v[35:36], v[18:19], s[14:15], v[43:44]
	s_mov_b32 s15, 0x3fd5d0dc
	v_fma_f64 v[41:42], v[45:46], s[0:1], -v[41:42]
	v_fma_f64 v[43:44], v[53:54], s[0:1], -v[43:44]
	s_wait_alu 0xfffe
	v_fma_f64 v[16:17], v[16:17], s[14:15], -v[55:56]
	v_fma_f64 v[18:19], v[18:19], s[14:15], -v[57:58]
	;; [unrolled: 1-line block ×4, first 2 shown]
	s_mov_b32 s0, 0x37c3f68c
	s_mov_b32 s1, 0xbfdc38aa
	v_fma_f64 v[37:38], v[37:38], s[10:11], v[4:5]
	v_fma_f64 v[39:40], v[39:40], s[10:11], v[6:7]
	s_wait_alu 0xfffe
	v_fma_f64 v[30:31], v[10:11], s[0:1], v[33:34]
	v_fma_f64 v[33:34], v[8:9], s[0:1], v[35:36]
	;; [unrolled: 1-line block ×6, first 2 shown]
	v_cmp_gt_u32_e64 s0, 0x4d, v52
	v_add_f64_e32 v[45:46], v[12:13], v[37:38]
	v_add_f64_e32 v[53:54], v[14:15], v[39:40]
	;; [unrolled: 1-line block ×7, first 2 shown]
	v_add_f64_e64 v[10:11], v[53:54], -v[30:31]
	v_add_f64_e32 v[12:13], v[43:44], v[55:56]
	v_add_f64_e64 v[14:15], v[57:58], -v[41:42]
	v_add_f64_e64 v[16:17], v[20:21], -v[35:36]
	v_add_f64_e32 v[18:19], v[26:27], v[22:23]
	v_add_f64_e32 v[20:21], v[35:36], v[20:21]
	v_add_f64_e64 v[22:23], v[22:23], -v[26:27]
	v_add_f64_e64 v[24:25], v[55:56], -v[43:44]
	v_add_f64_e32 v[26:27], v[41:42], v[57:58]
	v_add_f64_e64 v[28:29], v[45:46], -v[33:34]
	v_add_f64_e32 v[30:31], v[30:31], v[53:54]
	v_and_b32_e32 v33, 0xffff, v47
	v_lshlrev_b32_e32 v34, 4, v71
	s_delay_alu instid0(VALU_DEP_2) | instskip(NEXT) | instid1(VALU_DEP_1)
	v_mul_u32_u24_e32 v33, 0x4d0, v33
	v_add3_u32 v33, 0, v33, v34
	ds_store_b128 v33, v[4:7]
	ds_store_b128 v33, v[8:11] offset:176
	ds_store_b128 v33, v[12:15] offset:352
	ds_store_b128 v33, v[16:19] offset:528
	ds_store_b128 v33, v[20:23] offset:704
	ds_store_b128 v33, v[24:27] offset:880
	ds_store_b128 v33, v[28:31] offset:1056
	global_wb scope:SCOPE_SE
	s_wait_dscnt 0x0
	s_barrier_signal -1
	s_barrier_wait -1
	global_inv scope:SCOPE_SE
	s_and_saveexec_b32 s1, s0
	s_cbranch_execnz .LBB0_16
; %bb.14:
	s_wait_alu 0xfffe
	s_or_b32 exec_lo, exec_lo, s1
	s_and_b32 s0, vcc_lo, s0
	s_wait_alu 0xfffe
	s_and_saveexec_b32 s1, s0
	s_cbranch_execnz .LBB0_17
.LBB0_15:
	s_endpgm
.LBB0_16:
	ds_load_b128 v[4:7], v32
	ds_load_b128 v[8:11], v32 offset:1232
	ds_load_b128 v[12:15], v32 offset:2464
	;; [unrolled: 1-line block ×7, first 2 shown]
	s_wait_alu 0xfffe
	s_or_b32 exec_lo, exec_lo, s1
	s_and_b32 s0, vcc_lo, s0
	s_wait_alu 0xfffe
	s_and_saveexec_b32 s1, s0
	s_cbranch_execz .LBB0_15
.LBB0_17:
	v_mul_u32_u24_e32 v32, 7, v52
	s_mov_b32 s0, 0x667f3bcd
	s_mov_b32 s1, 0x3fe6a09e
	s_mov_b32 s5, 0xbfe6a09e
	s_wait_alu 0xfffe
	s_mov_b32 s4, s0
	v_lshlrev_b32_e32 v61, 4, v32
	s_clause 0x6
	global_load_b128 v[32:35], v61, s[8:9] offset:1104
	global_load_b128 v[36:39], v61, s[8:9] offset:1072
	global_load_b128 v[40:43], v61, s[8:9] offset:1136
	global_load_b128 v[44:47], v61, s[8:9] offset:1056
	global_load_b128 v[53:56], v61, s[8:9] offset:1120
	global_load_b128 v[57:60], v61, s[8:9] offset:1088
	global_load_b128 v[61:64], v61, s[8:9] offset:1152
	s_wait_loadcnt_dscnt 0x603
	v_mul_f64_e32 v[65:66], v[20:21], v[34:35]
	s_wait_loadcnt 0x5
	v_mul_f64_e32 v[67:68], v[14:15], v[38:39]
	s_wait_loadcnt_dscnt 0x401
	v_mul_f64_e32 v[69:70], v[30:31], v[42:43]
	s_wait_loadcnt 0x3
	v_mul_f64_e32 v[71:72], v[8:9], v[46:47]
	s_wait_loadcnt 0x2
	;; [unrolled: 2-line block ×3, first 2 shown]
	v_mul_f64_e32 v[75:76], v[18:19], v[59:60]
	s_wait_loadcnt_dscnt 0x0
	v_mul_f64_e32 v[77:78], v[2:3], v[63:64]
	v_mul_f64_e32 v[46:47], v[10:11], v[46:47]
	;; [unrolled: 1-line block ×8, first 2 shown]
	v_fma_f64 v[22:23], v[22:23], v[32:33], -v[65:66]
	v_fma_f64 v[12:13], v[12:13], v[36:37], v[67:68]
	v_fma_f64 v[28:29], v[28:29], v[40:41], v[69:70]
	v_fma_f64 v[10:11], v[10:11], v[44:45], -v[71:72]
	v_fma_f64 v[26:27], v[26:27], v[53:54], -v[73:74]
	v_fma_f64 v[16:17], v[16:17], v[57:58], v[75:76]
	v_fma_f64 v[0:1], v[0:1], v[61:62], v[77:78]
	;; [unrolled: 1-line block ×3, first 2 shown]
	v_fma_f64 v[14:15], v[14:15], v[36:37], -v[38:39]
	v_fma_f64 v[30:31], v[30:31], v[40:41], -v[42:43]
	v_fma_f64 v[24:25], v[24:25], v[53:54], v[55:56]
	v_fma_f64 v[20:21], v[20:21], v[32:33], v[34:35]
	v_fma_f64 v[18:19], v[18:19], v[57:58], -v[59:60]
	v_fma_f64 v[2:3], v[2:3], v[61:62], -v[63:64]
	v_mov_b32_e32 v53, 0
	v_add_f64_e64 v[22:23], v[6:7], -v[22:23]
	v_add_f64_e64 v[28:29], v[12:13], -v[28:29]
	;; [unrolled: 1-line block ×8, first 2 shown]
	v_fma_f64 v[6:7], v[6:7], 2.0, -v[22:23]
	v_add_f64_e64 v[32:33], v[22:23], -v[28:29]
	v_fma_f64 v[12:13], v[12:13], 2.0, -v[28:29]
	v_fma_f64 v[10:11], v[10:11], 2.0, -v[26:27]
	v_add_f64_e64 v[34:35], v[26:27], -v[0:1]
	v_fma_f64 v[0:1], v[16:17], 2.0, -v[0:1]
	v_fma_f64 v[14:15], v[14:15], 2.0, -v[30:31]
	;; [unrolled: 1-line block ×4, first 2 shown]
	v_add_f64_e32 v[28:29], v[20:21], v[30:31]
	v_fma_f64 v[16:17], v[18:19], 2.0, -v[2:3]
	v_add_f64_e32 v[2:3], v[24:25], v[2:3]
	v_fma_f64 v[36:37], v[22:23], 2.0, -v[32:33]
	v_fma_f64 v[18:19], v[26:27], 2.0, -v[34:35]
	v_add_f64_e64 v[30:31], v[6:7], -v[14:15]
	v_add_f64_e64 v[0:1], v[8:9], -v[0:1]
	;; [unrolled: 1-line block ×4, first 2 shown]
	v_fma_f64 v[12:13], v[24:25], 2.0, -v[2:3]
	v_fma_f64 v[24:25], v[20:21], 2.0, -v[28:29]
	v_fma_f64 v[20:21], v[34:35], s[0:1], v[32:33]
	v_fma_f64 v[22:23], v[2:3], s[0:1], v[28:29]
	s_wait_alu 0xfffe
	v_fma_f64 v[26:27], v[18:19], s[4:5], v[36:37]
	v_fma_f64 v[38:39], v[6:7], 2.0, -v[30:31]
	v_fma_f64 v[8:9], v[8:9], 2.0, -v[0:1]
	v_add_f64_e64 v[6:7], v[30:31], -v[0:1]
	v_fma_f64 v[40:41], v[10:11], 2.0, -v[14:15]
	v_fma_f64 v[42:43], v[4:5], 2.0, -v[16:17]
	v_add_f64_e32 v[4:5], v[16:17], v[14:15]
	v_fma_f64 v[44:45], v[12:13], s[4:5], v[24:25]
	v_fma_f64 v[2:3], v[2:3], s[4:5], v[20:21]
	;; [unrolled: 1-line block ×3, first 2 shown]
	v_mad_co_u64_u32 v[34:35], null, s2, v50, 0
	v_fma_f64 v[10:11], v[12:13], s[4:5], v[26:27]
	v_fma_f64 v[22:23], v[30:31], 2.0, -v[6:7]
	v_add_f64_e64 v[14:15], v[38:39], -v[40:41]
	v_add_f64_e64 v[12:13], v[42:43], -v[8:9]
	v_fma_f64 v[20:21], v[16:17], 2.0, -v[4:5]
	v_fma_f64 v[8:9], v[18:19], s[0:1], v[44:45]
	v_fma_f64 v[18:19], v[32:33], 2.0, -v[2:3]
	v_fma_f64 v[16:17], v[28:29], 2.0, -v[0:1]
	v_mul_lo_u32 v40, s3, v50
	v_mul_lo_u32 v41, s2, v51
	s_delay_alu instid0(VALU_DEP_1) | instskip(NEXT) | instid1(VALU_DEP_1)
	v_add3_u32 v35, v35, v41, v40
	v_lshlrev_b64_e32 v[32:33], 4, v[34:35]
	v_lshlrev_b64_e32 v[34:35], 4, v[48:49]
	v_fma_f64 v[26:27], v[36:37], 2.0, -v[10:11]
	s_delay_alu instid0(VALU_DEP_3) | instskip(SKIP_1) | instid1(VALU_DEP_4)
	v_add_co_u32 v36, vcc_lo, s6, v32
	s_wait_alu 0xfffd
	v_add_co_ci_u32_e32 v37, vcc_lo, s7, v33, vcc_lo
	v_lshlrev_b64_e32 v[32:33], 4, v[52:53]
	s_delay_alu instid0(VALU_DEP_3)
	v_add_co_u32 v34, vcc_lo, v36, v34
	v_fma_f64 v[30:31], v[38:39], 2.0, -v[14:15]
	v_fma_f64 v[28:29], v[42:43], 2.0, -v[12:13]
	;; [unrolled: 1-line block ×3, first 2 shown]
	s_wait_alu 0xfffd
	v_add_co_ci_u32_e32 v35, vcc_lo, v37, v35, vcc_lo
	v_add_co_u32 v32, vcc_lo, v34, v32
	s_wait_alu 0xfffd
	s_delay_alu instid0(VALU_DEP_2)
	v_add_co_ci_u32_e32 v33, vcc_lo, v35, v33, vcc_lo
	s_clause 0x7
	global_store_b128 v[32:33], v[20:23], off offset:2464
	global_store_b128 v[32:33], v[16:19], off offset:3696
	;; [unrolled: 1-line block ×4, first 2 shown]
	global_store_b128 v[32:33], v[28:31], off
	global_store_b128 v[32:33], v[24:27], off offset:1232
	global_store_b128 v[32:33], v[4:7], off offset:7392
	global_store_b128 v[32:33], v[0:3], off offset:8624
	s_nop 0
	s_sendmsg sendmsg(MSG_DEALLOC_VGPRS)
	s_endpgm
	.section	.rodata,"a",@progbits
	.p2align	6, 0x0
	.amdhsa_kernel fft_rtc_back_len616_factors_11_7_8_wgs_88_tpt_88_dp_op_CI_CI_unitstride_sbrr_dirReg
		.amdhsa_group_segment_fixed_size 0
		.amdhsa_private_segment_fixed_size 0
		.amdhsa_kernarg_size 104
		.amdhsa_user_sgpr_count 2
		.amdhsa_user_sgpr_dispatch_ptr 0
		.amdhsa_user_sgpr_queue_ptr 0
		.amdhsa_user_sgpr_kernarg_segment_ptr 1
		.amdhsa_user_sgpr_dispatch_id 0
		.amdhsa_user_sgpr_private_segment_size 0
		.amdhsa_wavefront_size32 1
		.amdhsa_uses_dynamic_stack 0
		.amdhsa_enable_private_segment 0
		.amdhsa_system_sgpr_workgroup_id_x 1
		.amdhsa_system_sgpr_workgroup_id_y 0
		.amdhsa_system_sgpr_workgroup_id_z 0
		.amdhsa_system_sgpr_workgroup_info 0
		.amdhsa_system_vgpr_workitem_id 0
		.amdhsa_next_free_vgpr 167
		.amdhsa_next_free_sgpr 39
		.amdhsa_reserve_vcc 1
		.amdhsa_float_round_mode_32 0
		.amdhsa_float_round_mode_16_64 0
		.amdhsa_float_denorm_mode_32 3
		.amdhsa_float_denorm_mode_16_64 3
		.amdhsa_fp16_overflow 0
		.amdhsa_workgroup_processor_mode 1
		.amdhsa_memory_ordered 1
		.amdhsa_forward_progress 0
		.amdhsa_round_robin_scheduling 0
		.amdhsa_exception_fp_ieee_invalid_op 0
		.amdhsa_exception_fp_denorm_src 0
		.amdhsa_exception_fp_ieee_div_zero 0
		.amdhsa_exception_fp_ieee_overflow 0
		.amdhsa_exception_fp_ieee_underflow 0
		.amdhsa_exception_fp_ieee_inexact 0
		.amdhsa_exception_int_div_zero 0
	.end_amdhsa_kernel
	.text
.Lfunc_end0:
	.size	fft_rtc_back_len616_factors_11_7_8_wgs_88_tpt_88_dp_op_CI_CI_unitstride_sbrr_dirReg, .Lfunc_end0-fft_rtc_back_len616_factors_11_7_8_wgs_88_tpt_88_dp_op_CI_CI_unitstride_sbrr_dirReg
                                        ; -- End function
	.section	.AMDGPU.csdata,"",@progbits
; Kernel info:
; codeLenInByte = 5968
; NumSgprs: 41
; NumVgprs: 167
; ScratchSize: 0
; MemoryBound: 1
; FloatMode: 240
; IeeeMode: 1
; LDSByteSize: 0 bytes/workgroup (compile time only)
; SGPRBlocks: 5
; VGPRBlocks: 20
; NumSGPRsForWavesPerEU: 41
; NumVGPRsForWavesPerEU: 167
; Occupancy: 9
; WaveLimiterHint : 1
; COMPUTE_PGM_RSRC2:SCRATCH_EN: 0
; COMPUTE_PGM_RSRC2:USER_SGPR: 2
; COMPUTE_PGM_RSRC2:TRAP_HANDLER: 0
; COMPUTE_PGM_RSRC2:TGID_X_EN: 1
; COMPUTE_PGM_RSRC2:TGID_Y_EN: 0
; COMPUTE_PGM_RSRC2:TGID_Z_EN: 0
; COMPUTE_PGM_RSRC2:TIDIG_COMP_CNT: 0
	.text
	.p2alignl 7, 3214868480
	.fill 96, 4, 3214868480
	.type	__hip_cuid_c963e5320477cf2f,@object ; @__hip_cuid_c963e5320477cf2f
	.section	.bss,"aw",@nobits
	.globl	__hip_cuid_c963e5320477cf2f
__hip_cuid_c963e5320477cf2f:
	.byte	0                               ; 0x0
	.size	__hip_cuid_c963e5320477cf2f, 1

	.ident	"AMD clang version 19.0.0git (https://github.com/RadeonOpenCompute/llvm-project roc-6.4.0 25133 c7fe45cf4b819c5991fe208aaa96edf142730f1d)"
	.section	".note.GNU-stack","",@progbits
	.addrsig
	.addrsig_sym __hip_cuid_c963e5320477cf2f
	.amdgpu_metadata
---
amdhsa.kernels:
  - .args:
      - .actual_access:  read_only
        .address_space:  global
        .offset:         0
        .size:           8
        .value_kind:     global_buffer
      - .offset:         8
        .size:           8
        .value_kind:     by_value
      - .actual_access:  read_only
        .address_space:  global
        .offset:         16
        .size:           8
        .value_kind:     global_buffer
      - .actual_access:  read_only
        .address_space:  global
        .offset:         24
        .size:           8
        .value_kind:     global_buffer
      - .actual_access:  read_only
        .address_space:  global
        .offset:         32
        .size:           8
        .value_kind:     global_buffer
      - .offset:         40
        .size:           8
        .value_kind:     by_value
      - .actual_access:  read_only
        .address_space:  global
        .offset:         48
        .size:           8
        .value_kind:     global_buffer
      - .actual_access:  read_only
        .address_space:  global
        .offset:         56
        .size:           8
        .value_kind:     global_buffer
      - .offset:         64
        .size:           4
        .value_kind:     by_value
      - .actual_access:  read_only
        .address_space:  global
        .offset:         72
        .size:           8
        .value_kind:     global_buffer
      - .actual_access:  read_only
        .address_space:  global
        .offset:         80
        .size:           8
        .value_kind:     global_buffer
      - .actual_access:  read_only
        .address_space:  global
        .offset:         88
        .size:           8
        .value_kind:     global_buffer
      - .actual_access:  write_only
        .address_space:  global
        .offset:         96
        .size:           8
        .value_kind:     global_buffer
    .group_segment_fixed_size: 0
    .kernarg_segment_align: 8
    .kernarg_segment_size: 104
    .language:       OpenCL C
    .language_version:
      - 2
      - 0
    .max_flat_workgroup_size: 88
    .name:           fft_rtc_back_len616_factors_11_7_8_wgs_88_tpt_88_dp_op_CI_CI_unitstride_sbrr_dirReg
    .private_segment_fixed_size: 0
    .sgpr_count:     41
    .sgpr_spill_count: 0
    .symbol:         fft_rtc_back_len616_factors_11_7_8_wgs_88_tpt_88_dp_op_CI_CI_unitstride_sbrr_dirReg.kd
    .uniform_work_group_size: 1
    .uses_dynamic_stack: false
    .vgpr_count:     167
    .vgpr_spill_count: 0
    .wavefront_size: 32
    .workgroup_processor_mode: 1
amdhsa.target:   amdgcn-amd-amdhsa--gfx1201
amdhsa.version:
  - 1
  - 2
...

	.end_amdgpu_metadata
